;; amdgpu-corpus repo=ROCm/rocFFT kind=compiled arch=gfx1100 opt=O3
	.text
	.amdgcn_target "amdgcn-amd-amdhsa--gfx1100"
	.amdhsa_code_object_version 6
	.protected	fft_rtc_back_len121_factors_11_11_wgs_121_tpt_11_half_op_CI_CI_sbcc_twdbase8_2step ; -- Begin function fft_rtc_back_len121_factors_11_11_wgs_121_tpt_11_half_op_CI_CI_sbcc_twdbase8_2step
	.globl	fft_rtc_back_len121_factors_11_11_wgs_121_tpt_11_half_op_CI_CI_sbcc_twdbase8_2step
	.p2align	8
	.type	fft_rtc_back_len121_factors_11_11_wgs_121_tpt_11_half_op_CI_CI_sbcc_twdbase8_2step,@function
fft_rtc_back_len121_factors_11_11_wgs_121_tpt_11_half_op_CI_CI_sbcc_twdbase8_2step: ; @fft_rtc_back_len121_factors_11_11_wgs_121_tpt_11_half_op_CI_CI_sbcc_twdbase8_2step
; %bb.0:
	s_clause 0x1
	s_load_b128 s[16:19], s[0:1], 0x18
	s_load_b64 s[28:29], s[0:1], 0x28
	s_mov_b32 s30, s15
	s_mov_b32 s31, 0
	s_mov_b64 s[22:23], 0
	s_waitcnt lgkmcnt(0)
	s_load_b64 s[26:27], s[16:17], 0x8
	s_waitcnt lgkmcnt(0)
	s_add_u32 s2, s26, -1
	s_addc_u32 s3, s27, -1
	s_add_u32 s4, 0, 0x5d161400
	s_addc_u32 s5, 0, 0x54
	s_mul_hi_u32 s7, s4, -11
	s_add_i32 s5, s5, 0x1745d120
	s_sub_i32 s7, s7, s4
	s_mul_i32 s9, s5, -11
	s_mul_i32 s6, s4, -11
	s_add_i32 s7, s7, s9
	s_mul_hi_u32 s8, s4, s6
	s_mul_i32 s11, s4, s7
	s_mul_hi_u32 s9, s4, s7
	s_mul_hi_u32 s10, s5, s6
	s_mul_i32 s6, s5, s6
	s_add_u32 s8, s8, s11
	s_addc_u32 s9, 0, s9
	s_mul_hi_u32 s12, s5, s7
	s_add_u32 s6, s8, s6
	s_mul_i32 s7, s5, s7
	s_addc_u32 s6, s9, s10
	s_addc_u32 s8, s12, 0
	s_add_u32 s6, s6, s7
	s_delay_alu instid0(SALU_CYCLE_1) | instskip(SKIP_3) | instid1(VALU_DEP_1)
	v_add_co_u32 v1, s4, s4, s6
	s_addc_u32 s6, 0, s8
	s_cmp_lg_u32 s4, 0
	s_addc_u32 s4, s5, s6
	v_readfirstlane_b32 s5, v1
	s_mul_i32 s7, s2, s4
	s_mul_hi_u32 s6, s2, s4
	s_mul_hi_u32 s8, s3, s4
	s_mul_i32 s4, s3, s4
	s_mul_hi_u32 s9, s2, s5
	s_mul_hi_u32 s10, s3, s5
	s_mul_i32 s5, s3, s5
	s_add_u32 s7, s9, s7
	s_addc_u32 s6, 0, s6
	s_add_u32 s5, s7, s5
	s_addc_u32 s5, s6, s10
	s_addc_u32 s6, s8, 0
	s_add_u32 s4, s5, s4
	s_addc_u32 s5, 0, s6
	s_mul_i32 s7, s4, 11
	s_add_u32 s6, s4, 1
	v_sub_co_u32 v1, s2, s2, s7
	s_mul_hi_u32 s7, s4, 11
	s_addc_u32 s8, s5, 0
	s_mul_i32 s9, s5, 11
	s_delay_alu instid0(VALU_DEP_1)
	v_sub_co_u32 v2, s10, v1, 11
	s_add_u32 s11, s4, 2
	s_addc_u32 s12, s5, 0
	s_add_i32 s7, s7, s9
	s_cmp_lg_u32 s2, 0
	v_readfirstlane_b32 s2, v2
	s_subb_u32 s3, s3, s7
	s_cmp_lg_u32 s10, 0
	s_subb_u32 s7, s3, 0
	s_delay_alu instid0(VALU_DEP_1) | instskip(SKIP_4) | instid1(SALU_CYCLE_1)
	s_cmp_gt_u32 s2, 10
	s_cselect_b32 s2, -1, 0
	s_cmp_eq_u32 s7, 0
	v_readfirstlane_b32 s7, v1
	s_cselect_b32 s2, s2, -1
	s_cmp_lg_u32 s2, 0
	s_cselect_b32 s2, s11, s6
	s_cselect_b32 s6, s12, s8
	s_cmp_gt_u32 s7, 10
	s_cselect_b32 s7, -1, 0
	s_cmp_eq_u32 s3, 0
	s_cselect_b32 s3, s7, -1
	s_delay_alu instid0(SALU_CYCLE_1) | instskip(SKIP_4) | instid1(SALU_CYCLE_1)
	s_cmp_lg_u32 s3, 0
	s_cselect_b32 s2, s2, s4
	s_cselect_b32 s3, s6, s5
	s_add_u32 s36, s2, 1
	s_addc_u32 s37, s3, 0
	v_cmp_lt_u64_e64 s2, s[30:31], s[36:37]
	s_delay_alu instid0(VALU_DEP_1)
	s_and_b32 vcc_lo, exec_lo, s2
	s_cbranch_vccnz .LBB0_2
; %bb.1:
	v_cvt_f32_u32_e32 v1, s36
	s_sub_i32 s3, 0, s36
	s_mov_b32 s23, s31
	s_delay_alu instid0(VALU_DEP_1) | instskip(SKIP_2) | instid1(VALU_DEP_1)
	v_rcp_iflag_f32_e32 v1, v1
	s_waitcnt_depctr 0xfff
	v_mul_f32_e32 v1, 0x4f7ffffe, v1
	v_cvt_u32_f32_e32 v1, v1
	s_delay_alu instid0(VALU_DEP_1) | instskip(NEXT) | instid1(VALU_DEP_1)
	v_readfirstlane_b32 s2, v1
	s_mul_i32 s3, s3, s2
	s_delay_alu instid0(SALU_CYCLE_1) | instskip(NEXT) | instid1(SALU_CYCLE_1)
	s_mul_hi_u32 s3, s2, s3
	s_add_i32 s2, s2, s3
	s_delay_alu instid0(SALU_CYCLE_1) | instskip(NEXT) | instid1(SALU_CYCLE_1)
	s_mul_hi_u32 s2, s30, s2
	s_mul_i32 s3, s2, s36
	s_add_i32 s4, s2, 1
	s_sub_i32 s3, s30, s3
	s_delay_alu instid0(SALU_CYCLE_1)
	s_sub_i32 s5, s3, s36
	s_cmp_ge_u32 s3, s36
	s_cselect_b32 s2, s4, s2
	s_cselect_b32 s3, s5, s3
	s_add_i32 s4, s2, 1
	s_cmp_ge_u32 s3, s36
	s_cselect_b32 s22, s4, s2
.LBB0_2:
	s_load_b128 s[12:15], s[18:19], 0x0
	s_load_b128 s[4:7], s[28:29], 0x0
	s_clause 0x1
	s_load_b128 s[8:11], s[0:1], 0x8
	s_load_b64 s[24:25], s[0:1], 0x0
	s_mul_i32 s2, s22, s37
	s_mul_hi_u32 s3, s22, s36
	s_mul_i32 s20, s22, s36
	s_add_i32 s3, s3, s2
	s_sub_u32 s50, s30, s20
	s_subb_u32 s2, 0, s3
	s_mul_hi_u32 s33, s50, 11
	s_mul_i32 s20, s2, 11
	s_load_b128 s[0:3], s[0:1], 0x60
	s_add_i32 s33, s33, s20
	s_mul_i32 s50, s50, 11
	s_waitcnt lgkmcnt(0)
	s_mul_i32 s20, s14, s33
	s_mul_hi_u32 s21, s14, s50
	v_cmp_lt_u64_e64 s40, s[10:11], 3
	s_mul_i32 s35, s6, s33
	s_mul_hi_u32 s38, s6, s50
	s_mul_i32 s34, s15, s50
	s_mul_i32 s39, s7, s50
	s_add_i32 s20, s21, s20
	s_add_i32 s21, s38, s35
	;; [unrolled: 1-line block ×3, first 2 shown]
	s_mul_i32 s34, s14, s50
	s_add_i32 s21, s21, s39
	s_and_b32 vcc_lo, exec_lo, s40
	s_mul_i32 s20, s6, s50
	s_cbranch_vccnz .LBB0_12
; %bb.3:
	s_add_u32 s38, s28, 16
	s_addc_u32 s39, s29, 0
	s_add_u32 s40, s18, 16
	s_addc_u32 s41, s19, 0
	;; [unrolled: 2-line block ×3, first 2 shown]
	s_mov_b64 s[42:43], 2
	s_mov_b32 s44, 0
.LBB0_4:                                ; =>This Inner Loop Header: Depth=1
	s_load_b64 s[46:47], s[16:17], 0x0
	s_waitcnt lgkmcnt(0)
	s_or_b64 s[48:49], s[22:23], s[46:47]
	s_delay_alu instid0(SALU_CYCLE_1) | instskip(NEXT) | instid1(SALU_CYCLE_1)
	s_mov_b32 s45, s49
                                        ; implicit-def: $sgpr48_sgpr49
	s_cmp_lg_u64 s[44:45], 0
	s_mov_b32 s45, -1
	s_cbranch_scc0 .LBB0_6
; %bb.5:                                ;   in Loop: Header=BB0_4 Depth=1
	v_cvt_f32_u32_e32 v1, s46
	v_cvt_f32_u32_e32 v2, s47
	s_sub_u32 s49, 0, s46
	s_subb_u32 s51, 0, s47
	s_delay_alu instid0(VALU_DEP_1) | instskip(NEXT) | instid1(VALU_DEP_1)
	v_fmac_f32_e32 v1, 0x4f800000, v2
	v_rcp_f32_e32 v1, v1
	s_waitcnt_depctr 0xfff
	v_mul_f32_e32 v1, 0x5f7ffffc, v1
	s_delay_alu instid0(VALU_DEP_1) | instskip(NEXT) | instid1(VALU_DEP_1)
	v_mul_f32_e32 v2, 0x2f800000, v1
	v_trunc_f32_e32 v2, v2
	s_delay_alu instid0(VALU_DEP_1) | instskip(SKIP_1) | instid1(VALU_DEP_2)
	v_fmac_f32_e32 v1, 0xcf800000, v2
	v_cvt_u32_f32_e32 v2, v2
	v_cvt_u32_f32_e32 v1, v1
	s_delay_alu instid0(VALU_DEP_2) | instskip(NEXT) | instid1(VALU_DEP_2)
	v_readfirstlane_b32 s45, v2
	v_readfirstlane_b32 s48, v1
	s_delay_alu instid0(VALU_DEP_2) | instskip(NEXT) | instid1(VALU_DEP_1)
	s_mul_i32 s52, s49, s45
	s_mul_hi_u32 s54, s49, s48
	s_mul_i32 s53, s51, s48
	s_add_i32 s52, s54, s52
	s_mul_i32 s55, s49, s48
	s_add_i32 s52, s52, s53
	s_mul_hi_u32 s54, s48, s55
	s_mul_hi_u32 s56, s45, s55
	s_mul_i32 s53, s45, s55
	s_mul_hi_u32 s55, s48, s52
	s_mul_i32 s48, s48, s52
	s_mul_hi_u32 s57, s45, s52
	s_add_u32 s48, s54, s48
	s_addc_u32 s54, 0, s55
	s_add_u32 s48, s48, s53
	s_mul_i32 s52, s45, s52
	s_addc_u32 s48, s54, s56
	s_addc_u32 s53, s57, 0
	s_add_u32 s48, s48, s52
	s_addc_u32 s52, 0, s53
	v_add_co_u32 v1, s48, v1, s48
	s_delay_alu instid0(VALU_DEP_1) | instskip(SKIP_1) | instid1(VALU_DEP_1)
	s_cmp_lg_u32 s48, 0
	s_addc_u32 s45, s45, s52
	v_readfirstlane_b32 s48, v1
	s_mul_i32 s52, s49, s45
	s_delay_alu instid0(VALU_DEP_1)
	s_mul_hi_u32 s53, s49, s48
	s_mul_i32 s51, s51, s48
	s_add_i32 s52, s53, s52
	s_mul_i32 s49, s49, s48
	s_add_i32 s52, s52, s51
	s_mul_hi_u32 s53, s45, s49
	s_mul_i32 s54, s45, s49
	s_mul_hi_u32 s49, s48, s49
	s_mul_hi_u32 s55, s48, s52
	s_mul_i32 s48, s48, s52
	s_mul_hi_u32 s51, s45, s52
	s_add_u32 s48, s49, s48
	s_addc_u32 s49, 0, s55
	s_add_u32 s48, s48, s54
	s_mul_i32 s52, s45, s52
	s_addc_u32 s48, s49, s53
	s_addc_u32 s49, s51, 0
	s_add_u32 s48, s48, s52
	s_addc_u32 s49, 0, s49
	v_add_co_u32 v1, s48, v1, s48
	s_delay_alu instid0(VALU_DEP_1) | instskip(SKIP_1) | instid1(VALU_DEP_1)
	s_cmp_lg_u32 s48, 0
	s_addc_u32 s45, s45, s49
	v_readfirstlane_b32 s48, v1
	s_mul_i32 s51, s22, s45
	s_mul_hi_u32 s49, s22, s45
	s_mul_hi_u32 s52, s23, s45
	s_mul_i32 s45, s23, s45
	s_mul_hi_u32 s53, s22, s48
	s_mul_hi_u32 s54, s23, s48
	s_mul_i32 s48, s23, s48
	s_add_u32 s51, s53, s51
	s_addc_u32 s49, 0, s49
	s_add_u32 s48, s51, s48
	s_addc_u32 s48, s49, s54
	s_addc_u32 s49, s52, 0
	s_add_u32 s48, s48, s45
	s_addc_u32 s49, 0, s49
	s_mul_hi_u32 s45, s46, s48
	s_mul_i32 s52, s46, s49
	s_mul_i32 s53, s46, s48
	s_add_i32 s45, s45, s52
	v_sub_co_u32 v1, s52, s22, s53
	s_mul_i32 s51, s47, s48
	s_delay_alu instid0(SALU_CYCLE_1) | instskip(NEXT) | instid1(VALU_DEP_1)
	s_add_i32 s45, s45, s51
	v_sub_co_u32 v2, s53, v1, s46
	s_sub_i32 s51, s23, s45
	s_cmp_lg_u32 s52, 0
	s_subb_u32 s51, s51, s47
	s_cmp_lg_u32 s53, 0
	v_readfirstlane_b32 s53, v2
	s_subb_u32 s51, s51, 0
	s_delay_alu instid0(SALU_CYCLE_1) | instskip(SKIP_1) | instid1(VALU_DEP_1)
	s_cmp_ge_u32 s51, s47
	s_cselect_b32 s54, -1, 0
	s_cmp_ge_u32 s53, s46
	s_cselect_b32 s53, -1, 0
	s_cmp_eq_u32 s51, s47
	s_cselect_b32 s51, s53, s54
	s_add_u32 s53, s48, 1
	s_addc_u32 s54, s49, 0
	s_add_u32 s55, s48, 2
	s_addc_u32 s56, s49, 0
	s_cmp_lg_u32 s51, 0
	s_cselect_b32 s51, s55, s53
	s_cselect_b32 s53, s56, s54
	s_cmp_lg_u32 s52, 0
	v_readfirstlane_b32 s52, v1
	s_subb_u32 s45, s23, s45
	s_delay_alu instid0(SALU_CYCLE_1) | instskip(SKIP_1) | instid1(VALU_DEP_1)
	s_cmp_ge_u32 s45, s47
	s_cselect_b32 s54, -1, 0
	s_cmp_ge_u32 s52, s46
	s_cselect_b32 s52, -1, 0
	s_cmp_eq_u32 s45, s47
	s_cselect_b32 s45, s52, s54
	s_delay_alu instid0(SALU_CYCLE_1)
	s_cmp_lg_u32 s45, 0
	s_mov_b32 s45, 0
	s_cselect_b32 s49, s53, s49
	s_cselect_b32 s48, s51, s48
.LBB0_6:                                ;   in Loop: Header=BB0_4 Depth=1
	s_and_not1_b32 vcc_lo, exec_lo, s45
	s_cbranch_vccnz .LBB0_8
; %bb.7:                                ;   in Loop: Header=BB0_4 Depth=1
	v_cvt_f32_u32_e32 v1, s46
	s_sub_i32 s48, 0, s46
	s_waitcnt_depctr 0xfff
	v_rcp_iflag_f32_e32 v1, v1
	s_waitcnt_depctr 0xfff
	v_mul_f32_e32 v1, 0x4f7ffffe, v1
	s_delay_alu instid0(VALU_DEP_1) | instskip(NEXT) | instid1(VALU_DEP_1)
	v_cvt_u32_f32_e32 v1, v1
	v_readfirstlane_b32 s45, v1
	s_delay_alu instid0(VALU_DEP_1) | instskip(NEXT) | instid1(SALU_CYCLE_1)
	s_mul_i32 s48, s48, s45
	s_mul_hi_u32 s48, s45, s48
	s_delay_alu instid0(SALU_CYCLE_1) | instskip(NEXT) | instid1(SALU_CYCLE_1)
	s_add_i32 s45, s45, s48
	s_mul_hi_u32 s45, s22, s45
	s_delay_alu instid0(SALU_CYCLE_1) | instskip(SKIP_2) | instid1(SALU_CYCLE_1)
	s_mul_i32 s48, s45, s46
	s_add_i32 s49, s45, 1
	s_sub_i32 s48, s22, s48
	s_sub_i32 s51, s48, s46
	s_cmp_ge_u32 s48, s46
	s_cselect_b32 s45, s49, s45
	s_cselect_b32 s48, s51, s48
	s_add_i32 s49, s45, 1
	s_cmp_ge_u32 s48, s46
	s_cselect_b32 s48, s49, s45
	s_mov_b32 s49, s44
.LBB0_8:                                ;   in Loop: Header=BB0_4 Depth=1
	s_load_b64 s[52:53], s[40:41], 0x0
	s_load_b64 s[54:55], s[38:39], 0x0
	s_mul_i32 s37, s46, s37
	s_mul_hi_u32 s45, s46, s36
	s_mul_i32 s51, s47, s36
	s_mul_i32 s47, s48, s47
	s_mul_hi_u32 s56, s48, s46
	s_mul_i32 s57, s49, s46
	s_add_i32 s37, s45, s37
	s_add_i32 s45, s56, s47
	s_mul_i32 s58, s48, s46
	s_add_i32 s37, s37, s51
	s_add_i32 s45, s45, s57
	s_sub_u32 s22, s22, s58
	s_subb_u32 s23, s23, s45
	s_mul_i32 s36, s46, s36
	s_waitcnt lgkmcnt(0)
	s_mul_i32 s45, s52, s23
	s_mul_hi_u32 s47, s52, s22
	s_mul_i32 s51, s53, s22
	s_add_i32 s45, s47, s45
	s_mul_i32 s52, s52, s22
	s_mul_i32 s23, s54, s23
	s_mul_hi_u32 s47, s54, s22
	s_add_i32 s45, s45, s51
	s_add_u32 s34, s52, s34
	s_addc_u32 s35, s45, s35
	s_add_i32 s23, s47, s23
	s_mul_i32 s45, s55, s22
	s_mul_i32 s22, s54, s22
	s_add_i32 s23, s23, s45
	s_add_u32 s20, s22, s20
	s_addc_u32 s21, s23, s21
	s_add_u32 s42, s42, 1
	s_addc_u32 s43, s43, 0
	s_add_u32 s38, s38, 8
	v_cmp_ge_u64_e64 s22, s[42:43], s[10:11]
	s_addc_u32 s39, s39, 0
	s_add_u32 s40, s40, 8
	s_addc_u32 s41, s41, 0
	s_add_u32 s16, s16, 8
	s_addc_u32 s17, s17, 0
	s_and_b32 vcc_lo, exec_lo, s22
	s_cbranch_vccnz .LBB0_10
; %bb.9:                                ;   in Loop: Header=BB0_4 Depth=1
	s_mov_b64 s[22:23], s[48:49]
	s_branch .LBB0_4
.LBB0_10:
	v_cmp_lt_u64_e64 s16, s[30:31], s[36:37]
	s_mov_b64 s[22:23], 0
	s_delay_alu instid0(VALU_DEP_1)
	s_and_b32 vcc_lo, exec_lo, s16
	s_cbranch_vccnz .LBB0_12
; %bb.11:
	v_cvt_f32_u32_e32 v1, s36
	s_sub_i32 s17, 0, s36
	s_delay_alu instid0(VALU_DEP_1) | instskip(SKIP_2) | instid1(VALU_DEP_1)
	v_rcp_iflag_f32_e32 v1, v1
	s_waitcnt_depctr 0xfff
	v_mul_f32_e32 v1, 0x4f7ffffe, v1
	v_cvt_u32_f32_e32 v1, v1
	s_delay_alu instid0(VALU_DEP_1) | instskip(NEXT) | instid1(VALU_DEP_1)
	v_readfirstlane_b32 s16, v1
	s_mul_i32 s17, s17, s16
	s_delay_alu instid0(SALU_CYCLE_1) | instskip(NEXT) | instid1(SALU_CYCLE_1)
	s_mul_hi_u32 s17, s16, s17
	s_add_i32 s16, s16, s17
	s_delay_alu instid0(SALU_CYCLE_1) | instskip(NEXT) | instid1(SALU_CYCLE_1)
	s_mul_hi_u32 s16, s30, s16
	s_mul_i32 s17, s16, s36
	s_add_i32 s22, s16, 1
	s_sub_i32 s17, s30, s17
	s_delay_alu instid0(SALU_CYCLE_1)
	s_sub_i32 s23, s17, s36
	s_cmp_ge_u32 s17, s36
	s_cselect_b32 s16, s22, s16
	s_cselect_b32 s17, s23, s17
	s_add_i32 s22, s16, 1
	s_cmp_ge_u32 s17, s36
	s_cselect_b32 s22, s22, s16
.LBB0_12:
	v_mul_u32_u24_e32 v1, 0x1746, v0
	s_lshl_b64 s[16:17], s[10:11], 3
	s_delay_alu instid0(SALU_CYCLE_1) | instskip(SKIP_1) | instid1(VALU_DEP_1)
	s_add_u32 s10, s28, s16
	s_addc_u32 s11, s29, s17
	v_lshrrev_b32_e32 v19, 16, v1
	s_add_u32 s28, s50, 11
	s_addc_u32 s29, s33, 0
	s_delay_alu instid0(SALU_CYCLE_1) | instskip(NEXT) | instid1(VALU_DEP_2)
	v_cmp_le_u64_e64 s23, s[28:29], s[26:27]
	v_mul_lo_u16 v1, v19, 11
	v_lshlrev_b32_e32 v22, 2, v19
	v_add_nc_u32_e32 v20, 11, v19
	v_add_nc_u32_e32 v18, 22, v19
	;; [unrolled: 1-line block ×3, first 2 shown]
	v_sub_nc_u16 v0, v0, v1
	v_add_nc_u32_e32 v16, 44, v19
	v_add_nc_u32_e32 v15, 55, v19
	;; [unrolled: 1-line block ×4, first 2 shown]
	v_and_b32_e32 v21, 0xffff, v0
	v_add_nc_u32_e32 v11, 0x58, v19
	v_add_nc_u32_e32 v12, 0x63, v19
	;; [unrolled: 1-line block ×3, first 2 shown]
	s_delay_alu instid0(VALU_DEP_4) | instskip(NEXT) | instid1(VALU_DEP_1)
	v_add_co_u32 v0, s28, s50, v21
	v_add_co_ci_u32_e64 v1, null, s33, 0, s28
	v_mul_u32_u24_e32 v23, 0x1e4, v21
	s_delay_alu instid0(VALU_DEP_2) | instskip(SKIP_1) | instid1(SALU_CYCLE_1)
	v_cmp_gt_u64_e32 vcc_lo, s[26:27], v[0:1]
	s_or_b32 s23, s23, vcc_lo
	s_and_saveexec_b32 s26, s23
	s_cbranch_execz .LBB0_14
; %bb.13:
	s_add_u32 s16, s18, s16
	s_addc_u32 s17, s19, s17
	v_mad_u64_u32 v[0:1], null, s14, v21, 0
	s_load_b64 s[16:17], s[16:17], 0x0
	v_mad_u64_u32 v[2:3], null, s12, v19, 0
	v_mad_u64_u32 v[4:5], null, s12, v20, 0
	v_mad_u64_u32 v[36:37], null, s12, v12, 0
	s_delay_alu instid0(VALU_DEP_3) | instskip(SKIP_3) | instid1(VALU_DEP_2)
	v_mad_u64_u32 v[6:7], null, s15, v21, v[1:2]
	v_mad_u64_u32 v[7:8], null, s12, v18, 0
	v_mov_b32_e32 v1, v3
	v_mov_b32_e32 v3, v5
	v_mad_u64_u32 v[24:25], null, s13, v19, v[1:2]
	v_mov_b32_e32 v1, v6
	s_waitcnt lgkmcnt(0)
	s_mul_i32 s15, s17, s22
	s_mul_hi_u32 s17, s16, s22
	s_mul_i32 s14, s16, s22
	s_add_i32 s15, s17, s15
	v_lshlrev_b64 v[0:1], 2, v[0:1]
	s_lshl_b64 s[14:15], s[14:15], 2
	v_mad_u64_u32 v[5:6], null, s13, v20, v[3:4]
	s_add_u32 s14, s0, s14
	s_addc_u32 s15, s1, s15
	s_lshl_b64 s[0:1], s[34:35], 2
	v_mov_b32_e32 v3, v24
	s_add_u32 s0, s14, s0
	s_addc_u32 s1, s15, s1
	v_add_co_u32 v41, vcc_lo, s0, v0
	v_add_co_ci_u32_e32 v42, vcc_lo, s1, v1, vcc_lo
	v_lshlrev_b64 v[1:2], 2, v[2:3]
	v_mov_b32_e32 v0, v8
	v_mad_u64_u32 v[24:25], null, s12, v17, 0
	s_delay_alu instid0(VALU_DEP_2)
	v_mad_u64_u32 v[8:9], null, s13, v18, v[0:1]
	v_add_co_u32 v0, vcc_lo, v41, v1
	v_add_co_ci_u32_e32 v1, vcc_lo, v42, v2, vcc_lo
	v_lshlrev_b64 v[2:3], 2, v[4:5]
	v_mad_u64_u32 v[5:6], null, s12, v16, 0
	v_mov_b32_e32 v4, v25
	v_lshlrev_b64 v[7:8], 2, v[7:8]
	s_delay_alu instid0(VALU_DEP_4) | instskip(SKIP_1) | instid1(VALU_DEP_4)
	v_add_co_u32 v2, vcc_lo, v41, v2
	v_add_co_ci_u32_e32 v3, vcc_lo, v42, v3, vcc_lo
	v_mad_u64_u32 v[25:26], null, s13, v17, v[4:5]
	v_mad_u64_u32 v[26:27], null, s12, v15, 0
	v_mov_b32_e32 v4, v6
	v_add_co_u32 v7, vcc_lo, v41, v7
	v_add_co_ci_u32_e32 v8, vcc_lo, v42, v8, vcc_lo
	s_delay_alu instid0(VALU_DEP_3) | instskip(SKIP_3) | instid1(VALU_DEP_3)
	v_mad_u64_u32 v[28:29], null, s13, v16, v[4:5]
	v_mov_b32_e32 v4, v27
	v_mad_u64_u32 v[29:30], null, s12, v14, 0
	v_lshlrev_b64 v[24:25], 2, v[24:25]
	v_mad_u64_u32 v[31:32], null, s13, v15, v[4:5]
	v_mov_b32_e32 v6, v28
	s_delay_alu instid0(VALU_DEP_3) | instskip(NEXT) | instid1(VALU_DEP_4)
	v_add_co_u32 v24, vcc_lo, v41, v24
	v_add_co_ci_u32_e32 v25, vcc_lo, v42, v25, vcc_lo
	s_delay_alu instid0(VALU_DEP_4) | instskip(NEXT) | instid1(VALU_DEP_4)
	v_mov_b32_e32 v27, v31
	v_lshlrev_b64 v[4:5], 2, v[5:6]
	v_mov_b32_e32 v6, v30
	v_mad_u64_u32 v[31:32], null, s12, v13, 0
	s_delay_alu instid0(VALU_DEP_4) | instskip(NEXT) | instid1(VALU_DEP_3)
	v_lshlrev_b64 v[26:27], 2, v[26:27]
	v_mad_u64_u32 v[33:34], null, s13, v14, v[6:7]
	v_mad_u64_u32 v[34:35], null, s12, v11, 0
	v_add_co_u32 v4, vcc_lo, v41, v4
	v_add_co_ci_u32_e32 v5, vcc_lo, v42, v5, vcc_lo
	s_delay_alu instid0(VALU_DEP_4) | instskip(SKIP_3) | instid1(VALU_DEP_4)
	v_mov_b32_e32 v30, v33
	v_add_co_u32 v26, vcc_lo, v41, v26
	v_mov_b32_e32 v9, v35
	v_add_co_ci_u32_e32 v27, vcc_lo, v42, v27, vcc_lo
	v_lshlrev_b64 v[28:29], 2, v[29:30]
	s_delay_alu instid0(VALU_DEP_3) | instskip(SKIP_2) | instid1(VALU_DEP_4)
	v_mad_u64_u32 v[38:39], null, s13, v11, v[9:10]
	v_mov_b32_e32 v6, v32
	v_mad_u64_u32 v[39:40], null, s12, v10, 0
	v_add_co_u32 v28, vcc_lo, v41, v28
	v_add_co_ci_u32_e32 v29, vcc_lo, v42, v29, vcc_lo
	v_mov_b32_e32 v35, v38
	v_mad_u64_u32 v[32:33], null, s13, v13, v[6:7]
	v_mov_b32_e32 v6, v37
	s_delay_alu instid0(VALU_DEP_1) | instskip(SKIP_1) | instid1(VALU_DEP_4)
	v_mad_u64_u32 v[37:38], null, s13, v12, v[6:7]
	v_mov_b32_e32 v6, v40
	v_lshlrev_b64 v[30:31], 2, v[31:32]
	s_delay_alu instid0(VALU_DEP_2) | instskip(SKIP_1) | instid1(VALU_DEP_3)
	v_mad_u64_u32 v[32:33], null, s13, v10, v[6:7]
	v_lshlrev_b64 v[33:34], 2, v[34:35]
	v_add_co_u32 v30, vcc_lo, v41, v30
	v_lshlrev_b64 v[35:36], 2, v[36:37]
	v_add_co_ci_u32_e32 v31, vcc_lo, v42, v31, vcc_lo
	v_mov_b32_e32 v40, v32
	v_add_co_u32 v32, vcc_lo, v41, v33
	v_add_co_ci_u32_e32 v33, vcc_lo, v42, v34, vcc_lo
	s_delay_alu instid0(VALU_DEP_3) | instskip(SKIP_2) | instid1(VALU_DEP_3)
	v_lshlrev_b64 v[37:38], 2, v[39:40]
	v_add_co_u32 v34, vcc_lo, v41, v35
	v_add_co_ci_u32_e32 v35, vcc_lo, v42, v36, vcc_lo
	v_add_co_u32 v36, vcc_lo, v41, v37
	s_delay_alu instid0(VALU_DEP_4)
	v_add_co_ci_u32_e32 v37, vcc_lo, v42, v38, vcc_lo
	s_clause 0xa
	global_load_b32 v0, v[0:1], off
	global_load_b32 v1, v[2:3], off
	global_load_b32 v2, v[7:8], off
	global_load_b32 v3, v[24:25], off
	global_load_b32 v4, v[4:5], off
	global_load_b32 v5, v[26:27], off
	global_load_b32 v6, v[28:29], off
	global_load_b32 v7, v[30:31], off
	global_load_b32 v8, v[32:33], off
	global_load_b32 v9, v[34:35], off
	global_load_b32 v24, v[36:37], off
	v_add3_u32 v25, 0, v23, v22
	s_waitcnt vmcnt(9)
	ds_store_2addr_b32 v25, v0, v1 offset1:11
	s_waitcnt vmcnt(7)
	ds_store_2addr_b32 v25, v2, v3 offset0:22 offset1:33
	s_waitcnt vmcnt(5)
	ds_store_2addr_b32 v25, v4, v5 offset0:44 offset1:55
	;; [unrolled: 2-line block ×4, first 2 shown]
	s_waitcnt vmcnt(0)
	ds_store_b32 v25, v24 offset:440
.LBB0_14:
	s_or_b32 exec_lo, exec_lo, s26
	s_add_u32 s0, 0, 0x5d161400
	s_addc_u32 s1, 0, 0x54
	s_mul_hi_u32 s13, s0, -11
	s_add_i32 s1, s1, 0x1745d120
	s_sub_i32 s13, s13, s0
	s_mul_i32 s14, s1, -11
	s_mul_i32 s12, s0, -11
	s_add_i32 s13, s13, s14
	s_mul_hi_u32 s15, s1, s12
	s_mul_i32 s14, s1, s12
	s_mul_i32 s16, s0, s13
	s_mul_hi_u32 s12, s0, s12
	s_mul_hi_u32 s17, s0, s13
	s_add_u32 s12, s12, s16
	s_addc_u32 s16, 0, s17
	s_mul_hi_u32 s17, s1, s13
	s_add_u32 s12, s12, s14
	s_addc_u32 s12, s16, s15
	s_mul_i32 s13, s1, s13
	s_addc_u32 s14, s17, 0
	s_add_u32 s12, s12, s13
	s_delay_alu instid0(SALU_CYCLE_1) | instskip(SKIP_3) | instid1(VALU_DEP_1)
	v_add_co_u32 v4, s0, s0, s12
	s_addc_u32 s12, 0, s14
	s_cmp_lg_u32 s0, 0
	v_add_co_u32 v25, s0, s50, v19
	v_add_co_ci_u32_e64 v5, null, s33, 0, s0
	s_addc_u32 s0, s1, s12
	s_delay_alu instid0(VALU_DEP_2) | instskip(SKIP_1) | instid1(VALU_DEP_3)
	v_mul_hi_u32 v6, v25, v4
	v_mad_u64_u32 v[0:1], null, v25, s0, 0
	v_mad_u64_u32 v[2:3], null, v5, v4, 0
	s_delay_alu instid0(VALU_DEP_2) | instskip(NEXT) | instid1(VALU_DEP_3)
	v_add_co_u32 v4, vcc_lo, v6, v0
	v_add_co_ci_u32_e32 v6, vcc_lo, 0, v1, vcc_lo
	v_mad_u64_u32 v[0:1], null, v5, s0, 0
	s_delay_alu instid0(VALU_DEP_3) | instskip(NEXT) | instid1(VALU_DEP_3)
	v_add_co_u32 v2, vcc_lo, v4, v2
	v_add_co_ci_u32_e32 v2, vcc_lo, v6, v3, vcc_lo
	s_load_b64 s[0:1], s[10:11], 0x0
	s_waitcnt lgkmcnt(0)
	s_delay_alu instid0(VALU_DEP_3) | instskip(NEXT) | instid1(VALU_DEP_2)
	v_add_co_ci_u32_e32 v1, vcc_lo, 0, v1, vcc_lo
	v_add_co_u32 v2, vcc_lo, v2, v0
	s_barrier
	s_delay_alu instid0(VALU_DEP_2) | instskip(NEXT) | instid1(VALU_DEP_2)
	v_add_co_ci_u32_e32 v4, vcc_lo, 0, v1, vcc_lo
	v_mad_u64_u32 v[0:1], null, v2, 11, 0
	buffer_gl0_inv
	v_mad_u64_u32 v[2:3], null, v4, 11, v[1:2]
	v_sub_co_u32 v0, vcc_lo, v25, v0
	s_delay_alu instid0(VALU_DEP_2) | instskip(NEXT) | instid1(VALU_DEP_2)
	v_sub_co_ci_u32_e32 v1, vcc_lo, v5, v2, vcc_lo
	v_sub_co_u32 v2, vcc_lo, v0, 11
	s_delay_alu instid0(VALU_DEP_2) | instskip(NEXT) | instid1(VALU_DEP_2)
	v_subrev_co_ci_u32_e32 v3, vcc_lo, 0, v1, vcc_lo
	v_cmp_lt_u32_e32 vcc_lo, 10, v2
	v_cndmask_b32_e64 v4, 0, -1, vcc_lo
	v_cmp_lt_u32_e32 vcc_lo, 10, v0
	v_cndmask_b32_e64 v5, 0, -1, vcc_lo
	v_cmp_eq_u32_e32 vcc_lo, 0, v3
	s_delay_alu instid0(VALU_DEP_4) | instskip(SKIP_1) | instid1(VALU_DEP_4)
	v_dual_cndmask_b32 v3, -1, v4 :: v_dual_add_nc_u32 v4, -11, v2
	v_cmp_eq_u32_e32 vcc_lo, 0, v1
	v_cndmask_b32_e32 v1, -1, v5, vcc_lo
	s_delay_alu instid0(VALU_DEP_3) | instskip(NEXT) | instid1(VALU_DEP_4)
	v_cmp_ne_u32_e32 vcc_lo, 0, v3
	v_cndmask_b32_e32 v2, v2, v4, vcc_lo
	s_delay_alu instid0(VALU_DEP_3) | instskip(NEXT) | instid1(VALU_DEP_2)
	v_cmp_ne_u32_e32 vcc_lo, 0, v1
	v_dual_cndmask_b32 v0, v0, v2 :: v_dual_lshlrev_b32 v1, 2, v21
	s_delay_alu instid0(VALU_DEP_1) | instskip(NEXT) | instid1(VALU_DEP_1)
	v_mul_u32_u24_e32 v0, 0x79, v0
	v_lshlrev_b32_e32 v0, 2, v0
	s_delay_alu instid0(VALU_DEP_1)
	v_add3_u32 v26, 0, v0, v1
	v_add3_u32 v24, 0, v1, v0
	ds_load_b32 v27, v26
	ds_load_2addr_b32 v[0:1], v24 offset0:11 offset1:22
	ds_load_2addr_b32 v[2:3], v24 offset0:99 offset1:110
	;; [unrolled: 1-line block ×5, first 2 shown]
	v_mad_u32_u24 v28, v21, 40, v24
	s_waitcnt lgkmcnt(0)
	s_barrier
	buffer_gl0_inv
	v_lshrrev_b32_e32 v31, 16, v27
	v_pk_add_f16 v29, v27, v0
	v_pk_add_f16 v32, v2, v1
	v_pk_add_f16 v33, v1, v2 neg_lo:[0,1] neg_hi:[0,1]
	v_pk_add_f16 v30, v3, v0
	v_pk_add_f16 v0, v0, v3 neg_lo:[0,1] neg_hi:[0,1]
	v_pk_add_f16 v1, v29, v1
	v_lshrrev_b32_e32 v39, 16, v32
	v_lshrrev_b32_e32 v38, 16, v33
	v_lshrrev_b32_e32 v36, 16, v30
	v_lshrrev_b32_e32 v35, 16, v0
	v_pk_add_f16 v1, v1, v4
	v_pk_mul_f16 v29, 0xb853, v0 op_sel_hi:[0,1]
	v_pk_mul_f16 v37, 0xbb47, v33 op_sel_hi:[0,1]
	v_mul_f16_e32 v42, 0x36a6, v36
	v_mul_f16_e32 v43, 0xbbeb, v35
	v_pk_add_f16 v1, v1, v5
	v_pk_fma_f16 v40, 0x3abb, v30, v29 op_sel:[0,0,1] op_sel_hi:[0,1,0]
	v_pk_fma_f16 v29, 0x3abb, v30, v29 op_sel:[0,0,1] op_sel_hi:[0,1,0] neg_lo:[0,0,1] neg_hi:[0,0,1]
	v_mul_f16_e32 v41, 0xbb47, v35
	v_mul_f16_e32 v48, 0x3482, v38
	v_pk_add_f16 v1, v1, v8
	v_fmamk_f16 v53, v30, 0xb08e, v43
	v_fma_f16 v43, v30, 0xb08e, -v43
	v_pk_add_f16 v34, v4, v7 neg_lo:[0,1] neg_hi:[0,1]
	v_mul_f16_e32 v44, 0xb08e, v36
	v_pk_add_f16 v1, v1, v9
	v_mul_f16_e32 v35, 0xba0c, v35
	v_mul_f16_e32 v36, 0xb93d, v36
	v_pk_fma_f16 v45, 0x36a6, v32, v37 op_sel:[0,0,1] op_sel_hi:[0,1,0]
	v_pk_fma_f16 v37, 0x36a6, v32, v37 op_sel:[0,0,1] op_sel_hi:[0,1,0] neg_lo:[0,0,1] neg_hi:[0,0,1]
	v_pk_add_f16 v1, v1, v6
	v_mul_f16_e32 v46, 0xba0c, v38
	v_mul_f16_e32 v47, 0xb93d, v39
	v_bfi_b32 v50, 0xffff, v40, v29
	v_fmamk_f16 v51, v30, 0x36a6, v41
	v_fmamk_f16 v52, v0, 0x3b47, v42
	v_fmac_f16_e32 v42, 0xbb47, v0
	v_fmamk_f16 v60, v32, 0xbbad, v48
	v_fma_f16 v48, v32, 0xbbad, -v48
	v_add_f16_e32 v43, v27, v43
	v_pk_add_f16 v1, v1, v7
	v_mul_f16_e32 v49, 0xbbad, v39
	v_mul_f16_e32 v38, 0x3beb, v38
	;; [unrolled: 1-line block ×3, first 2 shown]
	v_fmamk_f16 v54, v0, 0x3beb, v44
	v_fmac_f16_e32 v44, 0xbbeb, v0
	v_fmamk_f16 v55, v30, 0xb93d, v35
	v_fmamk_f16 v56, v0, 0x3a0c, v36
	v_fmac_f16_e32 v36, 0xba0c, v0
	v_bfi_b32 v57, 0xffff, v45, v37
	v_fmamk_f16 v58, v32, 0xb93d, v46
	v_fmamk_f16 v59, v33, 0x3a0c, v47
	v_fmac_f16_e32 v47, 0xba0c, v33
	v_pk_add_f16 v50, v27, v50
	v_add_f16_e32 v51, v27, v51
	v_add_f16_e32 v52, v31, v52
	;; [unrolled: 1-line block ×4, first 2 shown]
	v_pk_add_f16 v1, v1, v2
	v_add_f16_e32 v43, v48, v43
	v_pk_add_f16 v4, v7, v4
	v_lshrrev_b32_e32 v48, 16, v34
	v_fma_f16 v41, v30, 0x36a6, -v41
	v_fma_f16 v35, v30, 0xb93d, -v35
	v_fmamk_f16 v61, v33, 0xb482, v49
	v_add_f16_e32 v54, v31, v54
	v_add_f16_e32 v44, v31, v44
	;; [unrolled: 1-line block ×5, first 2 shown]
	v_pk_add_f16 v36, v57, v50
	v_add_f16_e32 v50, v58, v51
	v_add_f16_e32 v51, v59, v52
	v_add_f16_e32 v2, v47, v42
	v_add_f16_e32 v42, v60, v53
	v_pk_add_f16 v1, v1, v3
	v_fmac_f16_e32 v49, 0x3482, v33
	v_fmamk_f16 v3, v32, 0xb08e, v38
	v_fmamk_f16 v47, v33, 0xbbeb, v39
	v_pk_mul_f16 v7, 0xbbeb, v34 op_sel_hi:[0,1]
	v_mul_f16_e32 v52, 0x3482, v48
	v_lshrrev_b32_e32 v53, 16, v4
	v_fma_f16 v46, v32, 0xb93d, -v46
	v_add_f16_e32 v41, v27, v41
	v_add_f16_e32 v35, v27, v35
	;; [unrolled: 1-line block ×5, first 2 shown]
	v_pk_fma_f16 v49, 0xb08e, v4, v7 op_sel:[0,0,1] op_sel_hi:[0,1,0]
	v_pk_fma_f16 v7, 0xb08e, v4, v7 op_sel:[0,0,1] op_sel_hi:[0,1,0] neg_lo:[0,0,1] neg_hi:[0,0,1]
	v_fma_f16 v38, v32, 0xb08e, -v38
	v_fmac_f16_e32 v39, 0x3beb, v33
	v_fmamk_f16 v55, v4, 0xbbad, v52
	v_mul_f16_e32 v56, 0xbbad, v53
	v_add_f16_e32 v41, v46, v41
	v_add_f16_e32 v46, v61, v54
	v_bfi_b32 v54, 0xffff, v49, v7
	v_add_f16_e32 v35, v38, v35
	v_add_f16_e32 v31, v39, v31
	;; [unrolled: 1-line block ×3, first 2 shown]
	v_fmamk_f16 v39, v34, 0xb482, v56
	v_mul_f16_e32 v50, 0x3b47, v48
	v_pk_add_f16 v36, v54, v36
	v_mul_f16_e32 v54, 0x36a6, v53
	v_fma_f16 v52, v4, 0xbbad, -v52
	v_add_f16_e32 v39, v39, v51
	v_fmamk_f16 v51, v4, 0x36a6, v50
	v_fma_f16 v50, v4, 0x36a6, -v50
	v_fmamk_f16 v55, v34, 0xbb47, v54
	v_mul_f16_e32 v48, 0xb853, v48
	v_add_f16_e32 v41, v52, v41
	v_add_f16_e32 v42, v51, v42
	;; [unrolled: 1-line block ×3, first 2 shown]
	v_pk_add_f16 v50, v5, v6 neg_lo:[0,1] neg_hi:[0,1]
	v_pk_add_f16 v5, v6, v5
	v_add_f16_e32 v46, v55, v46
	v_mul_f16_e32 v51, 0x3abb, v53
	v_fmac_f16_e32 v54, 0x3b47, v34
	v_fmamk_f16 v52, v4, 0x3abb, v48
	v_pk_mul_f16 v6, 0xba0c, v50 op_sel_hi:[0,1]
	v_lshrrev_b32_e32 v55, 16, v5
	v_fmac_f16_e32 v56, 0x3482, v34
	v_fmamk_f16 v53, v34, 0x3853, v51
	v_add_f16_e32 v44, v54, v44
	v_lshrrev_b32_e32 v54, 16, v50
	v_add_f16_e32 v3, v52, v3
	v_pk_fma_f16 v52, 0xb93d, v5, v6 op_sel:[0,0,1] op_sel_hi:[0,1,0]
	v_pk_fma_f16 v6, 0xb93d, v5, v6 op_sel:[0,0,1] op_sel_hi:[0,1,0] neg_lo:[0,0,1] neg_hi:[0,0,1]
	v_fma_f16 v48, v4, 0x3abb, -v48
	v_fmac_f16_e32 v51, 0xb853, v34
	v_mul_f16_e32 v58, 0xb08e, v55
	v_add_f16_e32 v2, v56, v2
	v_add_f16_e32 v47, v53, v47
	v_mul_f16_e32 v53, 0x3beb, v54
	v_bfi_b32 v56, 0xffff, v52, v6
	v_add_f16_e32 v35, v48, v35
	v_add_f16_e32 v31, v51, v31
	v_fmamk_f16 v48, v50, 0xbbeb, v58
	v_mul_f16_e32 v51, 0xb853, v54
	v_fmamk_f16 v57, v5, 0xb08e, v53
	v_pk_add_f16 v36, v56, v36
	v_mul_f16_e32 v56, 0x3abb, v55
	v_fma_f16 v53, v5, 0xb08e, -v53
	v_add_f16_e32 v39, v48, v39
	v_fmamk_f16 v48, v5, 0x3abb, v51
	v_fma_f16 v51, v5, 0x3abb, -v51
	v_add_f16_e32 v38, v57, v38
	v_fmamk_f16 v57, v50, 0x3853, v56
	v_add_f16_e32 v41, v53, v41
	v_add_f16_e32 v42, v48, v42
	v_mul_f16_e32 v48, 0xb482, v54
	v_mul_f16_e32 v53, 0xbbad, v55
	v_add_f16_e32 v43, v51, v43
	v_pk_add_f16 v51, v8, v9 neg_lo:[0,1] neg_hi:[0,1]
	v_fmac_f16_e32 v56, 0xb853, v50
	v_fmamk_f16 v54, v5, 0xbbad, v48
	v_fmamk_f16 v55, v50, 0x3482, v53
	v_pk_add_f16 v8, v9, v8
	v_pk_mul_f16 v9, 0xb482, v51 op_sel_hi:[0,1]
	v_add_f16_e32 v44, v56, v44
	v_lshrrev_b32_e32 v56, 16, v51
	v_fmac_f16_e32 v58, 0x3beb, v50
	v_add_f16_e32 v46, v57, v46
	v_add_f16_e32 v3, v54, v3
	;; [unrolled: 1-line block ×3, first 2 shown]
	v_pk_fma_f16 v54, 0xbbad, v8, v9 op_sel:[0,0,1] op_sel_hi:[0,1,0]
	v_pk_fma_f16 v9, 0xbbad, v8, v9 op_sel:[0,0,1] op_sel_hi:[0,1,0] neg_lo:[0,0,1] neg_hi:[0,0,1]
	v_mul_f16_e32 v55, 0x3853, v56
	v_fma_f16 v48, v5, 0xbbad, -v48
	v_lshrrev_b32_e32 v57, 16, v8
	v_add_f16_e32 v2, v58, v2
	v_fmac_f16_e32 v53, 0xb482, v50
	v_bfi_b32 v58, 0xffff, v54, v9
	v_fmamk_f16 v59, v8, 0x3abb, v55
	v_add_f16_e32 v35, v48, v35
	v_mul_f16_e32 v48, 0x3abb, v57
	v_add_f16_e32 v31, v53, v31
	v_pk_add_f16 v36, v58, v36
	v_add_f16_e32 v38, v59, v38
	v_mul_f16_e32 v53, 0xba0c, v56
	v_fmamk_f16 v58, v51, 0xb853, v48
	v_fma_f16 v55, v8, 0x3abb, -v55
	v_fmac_f16_e32 v48, 0x3853, v51
	v_mul_f16_e32 v59, 0xb93d, v57
	v_fmamk_f16 v60, v8, 0xb93d, v53
	v_fma_f16 v53, v8, 0xb93d, -v53
	v_add_f16_e32 v41, v55, v41
	v_add_f16_e32 v2, v48, v2
	v_fmamk_f16 v48, v51, 0x3a0c, v59
	v_mul_f16_e32 v55, 0x3b47, v56
	v_add_f16_e32 v43, v53, v43
	v_pk_mul_f16 v30, 0xbbad, v30 op_sel_hi:[0,1]
	v_pk_mul_f16 v32, 0x3abb, v32 op_sel_hi:[0,1]
	v_add_f16_e32 v46, v48, v46
	v_mul_f16_e32 v48, 0x36a6, v57
	v_fmamk_f16 v53, v8, 0x36a6, v55
	v_add_f16_e32 v39, v58, v39
	v_add_f16_e32 v42, v60, v42
	v_pk_mul_f16 v4, 0xb93d, v4 op_sel_hi:[0,1]
	v_fmamk_f16 v56, v51, 0xbb47, v48
	v_fmac_f16_e32 v48, 0x3b47, v51
	v_add_f16_e32 v3, v53, v3
	v_pk_fma_f16 v53, 0xb482, v0, v30 op_sel:[0,0,1] op_sel_hi:[0,1,0]
	v_pk_fma_f16 v0, 0xb482, v0, v30 op_sel:[0,0,1] op_sel_hi:[0,1,0] neg_lo:[0,1,0] neg_hi:[0,1,0]
	v_pk_fma_f16 v30, 0x3853, v33, v32 op_sel:[0,0,1] op_sel_hi:[0,1,0]
	v_add_f16_e32 v31, v48, v31
	v_pack_b32_f16 v42, v42, v46
	v_alignbit_b32 v48, s0, v53, 16
	v_pack_b32_f16 v38, v38, v39
	v_alignbit_b32 v46, s0, v27, 16
	v_pk_add_f16 v0, v27, v0 op_sel:[1,0] op_sel_hi:[0,1]
	v_pk_fma_f16 v32, 0x3853, v33, v32 op_sel:[0,0,1] op_sel_hi:[0,1,0] neg_lo:[0,1,0] neg_hi:[0,1,0]
	v_pk_add_f16 v39, v27, v48
	v_alignbit_b32 v48, s0, v30, 16
	v_pk_fma_f16 v33, 0xba0c, v34, v4 op_sel:[0,0,1] op_sel_hi:[0,1,0]
	v_pk_mul_f16 v5, 0x36a6, v5 op_sel_hi:[0,1]
	v_bfi_b32 v29, 0xffff, v29, v40
	v_pk_add_f16 v46, v46, v53
	v_pk_add_f16 v39, v48, v39
	;; [unrolled: 1-line block ×3, first 2 shown]
	v_alignbit_b32 v32, s0, v33, 16
	v_pk_fma_f16 v4, 0xba0c, v34, v4 op_sel:[0,0,1] op_sel_hi:[0,1,0] neg_lo:[0,1,0] neg_hi:[0,1,0]
	v_pk_fma_f16 v34, 0x3b47, v50, v5 op_sel:[0,0,1] op_sel_hi:[0,1,0]
	v_pk_add_f16 v27, v27, v29
	v_bfi_b32 v29, 0xffff, v37, v45
	v_fma_f16 v55, v8, 0x36a6, -v55
	v_pk_add_f16 v30, v30, v46
	v_pk_add_f16 v32, v32, v39
	;; [unrolled: 1-line block ×3, first 2 shown]
	v_alignbit_b32 v4, s0, v34, 16
	v_pk_mul_f16 v8, 0xb08e, v8 op_sel_hi:[0,1]
	v_pk_add_f16 v27, v29, v27
	v_bfi_b32 v7, 0xffff, v7, v49
	v_pk_add_f16 v30, v33, v30
	v_pk_fma_f16 v5, 0x3b47, v50, v5 op_sel:[0,0,1] op_sel_hi:[0,1,0] neg_lo:[0,1,0] neg_hi:[0,1,0]
	v_pk_add_f16 v4, v4, v32
	v_pk_fma_f16 v32, 0xbbeb, v51, v8 op_sel:[0,0,1] op_sel_hi:[0,1,0]
	v_pk_add_f16 v7, v7, v27
	v_bfi_b32 v6, 0xffff, v6, v52
	v_fmac_f16_e32 v59, 0xba0c, v51
	v_pk_add_f16 v0, v5, v0
	v_pk_fma_f16 v5, 0xbbeb, v51, v8 op_sel:[0,0,1] op_sel_hi:[0,1,0] neg_lo:[0,1,0] neg_hi:[0,1,0]
	v_pk_add_f16 v8, v34, v30
	v_alignbit_b32 v29, s0, v32, 16
	v_pk_add_f16 v6, v6, v7
	v_bfi_b32 v7, 0xffff, v9, v54
	v_add_f16_e32 v44, v59, v44
	v_add_f16_e32 v35, v55, v35
	v_pk_add_f16 v0, v5, v0
	v_pk_add_f16 v5, v32, v8
	;; [unrolled: 1-line block ×4, first 2 shown]
	v_mul_u32_u24_e32 v7, 10, v21
	v_add_f16_e32 v47, v56, v47
	v_alignbit_b32 v5, v5, v0, 16
	v_pack_b32_f16 v0, v4, v0
	v_pack_b32_f16 v4, v43, v44
	;; [unrolled: 1-line block ×3, first 2 shown]
	v_lshlrev_b32_e32 v9, 2, v7
	v_pack_b32_f16 v2, v41, v2
	v_pack_b32_f16 v3, v3, v47
	ds_store_2addr_b32 v28, v1, v36 offset1:1
	ds_store_2addr_b32 v28, v38, v42 offset0:2 offset1:3
	ds_store_b32 v28, v3 offset:16
	ds_store_2addr_b32 v28, v0, v5 offset0:5 offset1:6
	ds_store_2addr_b32 v28, v8, v4 offset0:7 offset1:8
	ds_store_2addr_b32 v28, v2, v6 offset0:9 offset1:10
	s_waitcnt lgkmcnt(0)
	s_barrier
	buffer_gl0_inv
	s_clause 0x2
	global_load_b128 v[0:3], v9, s[24:25]
	global_load_b128 v[4:7], v9, s[24:25] offset:16
	global_load_b64 v[8:9], v9, s[24:25] offset:32
	v_add_nc_u32_e32 v27, 11, v21
	v_add_nc_u32_e32 v28, 22, v21
	;; [unrolled: 1-line block ×8, first 2 shown]
	v_mul_lo_u32 v35, v25, v21
	v_mul_lo_u32 v27, v25, v27
	;; [unrolled: 1-line block ×9, first 2 shown]
	v_and_b32_e32 v36, 0xff, v35
	v_lshrrev_b32_e32 v35, 6, v35
	v_and_b32_e32 v39, 0xff, v27
	v_lshrrev_b32_e32 v27, 6, v27
	;; [unrolled: 2-line block ×9, first 2 shown]
	v_lshlrev_b32_e32 v47, 2, v36
	v_and_b32_e32 v48, 0x3fc, v35
	v_and_b32_e32 v49, 0x3fc, v27
	;; [unrolled: 1-line block ×9, first 2 shown]
	ds_load_2addr_b32 v[27:28], v24 offset0:11 offset1:22
	ds_load_2addr_b32 v[29:30], v24 offset0:33 offset1:44
	;; [unrolled: 1-line block ×4, first 2 shown]
	ds_load_b32 v26, v26
	ds_load_u16 v57, v24 offset:222
	ds_load_2addr_b32 v[35:36], v24 offset0:99 offset1:110
	v_lshlrev_b32_e32 v39, 2, v39
	v_lshlrev_b32_e32 v40, 2, v40
	;; [unrolled: 1-line block ×7, first 2 shown]
	s_clause 0xf
	global_load_b32 v47, v47, s[8:9]
	global_load_b32 v48, v48, s[8:9] offset:1024
	global_load_b32 v39, v39, s[8:9]
	global_load_b32 v49, v49, s[8:9] offset:1024
	;; [unrolled: 2-line block ×8, first 2 shown]
	v_add_nc_u32_e32 v37, 0x63, v21
	v_add_nc_u32_e32 v38, 0x6e, v21
	v_lshlrev_b32_e32 v46, 2, v46
	s_waitcnt lgkmcnt(6)
	v_lshrrev_b32_e32 v63, 16, v27
	v_lshrrev_b32_e32 v64, 16, v28
	s_waitcnt lgkmcnt(5)
	v_lshrrev_b32_e32 v65, 16, v29
	v_lshrrev_b32_e32 v66, 16, v30
	;; [unrolled: 3-line block ×3, first 2 shown]
	v_lshrrev_b32_e32 v59, 16, v33
	v_lshrrev_b32_e32 v60, 16, v34
	s_waitcnt lgkmcnt(0)
	v_lshrrev_b32_e32 v61, 16, v35
	v_lshrrev_b32_e32 v62, 16, v36
	s_waitcnt vmcnt(18)
	v_lshrrev_b32_e32 v68, 16, v0
	v_lshrrev_b32_e32 v69, 16, v1
	;; [unrolled: 1-line block ×4, first 2 shown]
	s_waitcnt vmcnt(17)
	v_lshrrev_b32_e32 v72, 16, v4
	v_mul_f16_e32 v78, v68, v63
	v_mul_f16_e32 v68, v68, v27
	;; [unrolled: 1-line block ×5, first 2 shown]
	v_fmac_f16_e32 v78, v0, v27
	v_fma_f16 v0, v0, v63, -v68
	v_mul_f16_e32 v70, v70, v29
	v_fmac_f16_e32 v79, v1, v28
	v_fma_f16 v1, v1, v64, -v69
	v_mul_f16_e32 v81, v71, v66
	v_add_f16_e32 v28, v0, v67
	v_mul_f16_e32 v71, v71, v30
	v_fmac_f16_e32 v80, v2, v29
	v_fma_f16 v2, v2, v65, -v70
	v_lshrrev_b32_e32 v73, 16, v5
	v_add_f16_e32 v28, v28, v1
	v_mul_f16_e32 v82, v57, v72
	v_mul_f16_e32 v72, v72, v31
	v_fmac_f16_e32 v81, v3, v30
	v_fma_f16 v3, v3, v66, -v71
	v_add_f16_e32 v28, v28, v2
	v_lshrrev_b32_e32 v74, 16, v6
	v_mul_f16_e32 v83, v58, v73
	v_mul_f16_e32 v73, v32, v73
	v_fmac_f16_e32 v82, v4, v31
	v_fma_f16 v4, v57, v4, -v72
	v_add_f16_e32 v28, v28, v3
	v_lshrrev_b32_e32 v75, 16, v7
	v_mul_f16_e32 v84, v59, v74
	v_mul_f16_e32 v74, v33, v74
	v_fmac_f16_e32 v83, v32, v5
	v_fma_f16 v5, v58, v5, -v73
	v_add_f16_e32 v28, v28, v4
	s_waitcnt vmcnt(16)
	v_lshrrev_b32_e32 v76, 16, v8
	v_mul_f16_e32 v85, v60, v75
	v_mul_f16_e32 v75, v34, v75
	v_fmac_f16_e32 v84, v33, v6
	v_fma_f16 v6, v59, v6, -v74
	v_add_f16_e32 v28, v28, v5
	v_lshrrev_b32_e32 v77, 16, v9
	v_mul_f16_e32 v86, v61, v76
	v_mul_f16_e32 v76, v35, v76
	v_fmac_f16_e32 v85, v34, v7
	v_fma_f16 v7, v60, v7, -v75
	v_add_f16_e32 v28, v28, v6
	v_mul_f16_e32 v87, v62, v77
	v_mul_f16_e32 v77, v36, v77
	v_fmac_f16_e32 v86, v35, v8
	v_fma_f16 v8, v61, v8, -v76
	v_add_f16_e32 v28, v28, v7
	v_fmac_f16_e32 v87, v36, v9
	v_fma_f16 v9, v62, v9, -v77
	v_add_f16_e32 v72, v79, v86
	v_sub_f16_e32 v70, v1, v8
	v_add_f16_e32 v28, v28, v8
	v_add_f16_e32 v29, v78, v87
	v_sub_f16_e32 v30, v0, v9
	v_add_f16_e32 v0, v0, v9
	v_sub_f16_e32 v31, v78, v87
	v_add_f16_e32 v9, v28, v9
	v_mul_lo_u32 v28, v25, v37
	v_mul_lo_u32 v25, v25, v38
	s_clause 0x1
	global_load_b32 v38, v46, s[8:9]
	global_load_b32 v46, v56, s[8:9] offset:1024
	v_mul_f16_e32 v32, 0xb853, v30
	v_mul_f16_e32 v57, 0xb08e, v0
	;; [unrolled: 1-line block ×5, first 2 shown]
	v_and_b32_e32 v64, 0xff, v28
	v_lshrrev_b32_e32 v28, 6, v28
	v_and_b32_e32 v66, 0xff, v25
	v_lshrrev_b32_e32 v25, 6, v25
	v_mul_f16_e32 v36, 0xbbeb, v30
	v_lshlrev_b32_e32 v64, 2, v64
	v_and_b32_e32 v28, 0x3fc, v28
	v_lshlrev_b32_e32 v66, 2, v66
	v_and_b32_e32 v25, 0x3fc, v25
	s_clause 0x3
	global_load_b32 v64, v64, s[8:9]
	global_load_b32 v28, v28, s[8:9] offset:1024
	global_load_b32 v66, v66, s[8:9]
	global_load_b32 v25, v25, s[8:9] offset:1024
	v_fmamk_f16 v58, v29, 0x3abb, v32
	v_fmamk_f16 v63, v31, 0x3beb, v57
	v_fmac_f16_e32 v57, 0xbbeb, v31
	v_mul_f16_e32 v37, 0xba0c, v30
	v_mul_f16_e32 v65, 0xb93d, v0
	;; [unrolled: 1-line block ×5, first 2 shown]
	v_add_f16_e32 v1, v1, v8
	v_fmamk_f16 v59, v31, 0x3853, v33
	v_fma_f16 v32, v29, 0x3abb, -v32
	v_fmac_f16_e32 v33, 0xb853, v31
	v_fmamk_f16 v60, v29, 0x36a6, v34
	v_fmamk_f16 v61, v31, 0x3b47, v35
	v_fma_f16 v34, v29, 0x36a6, -v34
	v_fmac_f16_e32 v35, 0xbb47, v31
	v_fmamk_f16 v62, v29, 0xb08e, v36
	v_fma_f16 v36, v29, 0xb08e, -v36
	v_add_f16_e32 v58, v58, v26
	v_add_f16_e32 v56, v57, v67
	v_fmamk_f16 v57, v29, 0xb93d, v37
	v_fmamk_f16 v68, v31, 0x3a0c, v65
	v_fma_f16 v37, v29, 0xb93d, -v37
	v_fmac_f16_e32 v65, 0xba0c, v31
	v_fmamk_f16 v69, v29, 0xbbad, v30
	v_fmamk_f16 v71, v31, 0x3482, v0
	v_fma_f16 v8, v29, 0xbbad, -v30
	v_fmac_f16_e32 v0, 0xb482, v31
	v_sub_f16_e32 v29, v79, v86
	v_fmamk_f16 v30, v72, 0x36a6, v73
	v_mul_f16_e32 v31, 0x36a6, v1
	v_add_f16_e32 v27, v78, v26
	v_add_f16_e32 v59, v59, v67
	;; [unrolled: 1-line block ×20, first 2 shown]
	v_fmamk_f16 v30, v29, 0x3b47, v31
	v_mul_f16_e32 v58, 0xba0c, v70
	v_fma_f16 v67, v72, 0x36a6, -v73
	v_fmac_f16_e32 v31, 0xbb47, v29
	v_mul_f16_e32 v73, 0xb93d, v1
	v_add_f16_e32 v30, v30, v59
	v_fmamk_f16 v59, v72, 0xb93d, v58
	v_add_f16_e32 v32, v67, v32
	v_add_f16_e32 v31, v31, v33
	v_fmamk_f16 v33, v29, 0x3a0c, v73
	v_mul_f16_e32 v67, 0x3482, v70
	v_add_f16_e32 v59, v59, v60
	v_fma_f16 v58, v72, 0xb93d, -v58
	v_fmac_f16_e32 v73, 0xba0c, v29
	v_add_f16_e32 v33, v33, v61
	v_fmamk_f16 v60, v72, 0xbbad, v67
	v_mul_f16_e32 v61, 0xbbad, v1
	v_add_f16_e32 v34, v58, v34
	v_mul_f16_e32 v58, 0x3beb, v70
	v_mul_f16_e32 v74, 0xb08e, v1
	v_add_f16_e32 v60, v60, v62
	v_fmamk_f16 v62, v29, 0xb482, v61
	v_fmac_f16_e32 v61, 0x3482, v29
	v_add_f16_e32 v35, v73, v35
	v_fma_f16 v67, v72, 0xbbad, -v67
	v_fmamk_f16 v73, v72, 0xb08e, v58
	v_add_f16_e32 v62, v62, v63
	v_add_f16_e32 v56, v61, v56
	v_fmamk_f16 v61, v29, 0xbbeb, v74
	v_mul_f16_e32 v63, 0x3853, v70
	v_fma_f16 v58, v72, 0xb08e, -v58
	v_fmac_f16_e32 v74, 0x3beb, v29
	v_add_f16_e32 v36, v67, v36
	v_mul_f16_e32 v1, 0x3abb, v1
	v_fmamk_f16 v67, v72, 0x3abb, v63
	v_add_f16_e32 v37, v58, v37
	v_add_f16_e32 v58, v74, v65
	v_sub_f16_e32 v65, v2, v7
	v_add_f16_e32 v2, v2, v7
	v_add_f16_e32 v61, v61, v68
	v_fmamk_f16 v68, v29, 0xb853, v1
	v_add_f16_e32 v67, v67, v69
	v_add_f16_e32 v69, v80, v85
	v_mul_f16_e32 v7, 0xbbeb, v65
	v_fma_f16 v63, v72, 0x3abb, -v63
	v_fmac_f16_e32 v1, 0x3853, v29
	v_sub_f16_e32 v29, v80, v85
	v_mul_f16_e32 v70, 0xb08e, v2
	v_add_f16_e32 v68, v68, v71
	v_fmamk_f16 v71, v69, 0xb08e, v7
	v_add_f16_e32 v8, v63, v8
	v_add_f16_e32 v0, v1, v0
	v_mul_f16_e32 v1, 0x3482, v65
	v_fmamk_f16 v63, v29, 0x3beb, v70
	v_add_f16_e32 v26, v71, v26
	v_fma_f16 v7, v69, 0xb08e, -v7
	v_fmac_f16_e32 v70, 0xbbeb, v29
	v_fmamk_f16 v71, v69, 0xbbad, v1
	v_add_f16_e32 v30, v63, v30
	v_mul_f16_e32 v63, 0xbbad, v2
	v_add_f16_e32 v7, v7, v32
	v_add_f16_e32 v31, v70, v31
	;; [unrolled: 1-line block ×3, first 2 shown]
	v_mul_f16_e32 v59, 0x3b47, v65
	v_fmamk_f16 v70, v29, 0xb482, v63
	v_fma_f16 v1, v69, 0xbbad, -v1
	v_fmac_f16_e32 v63, 0x3482, v29
	v_mul_f16_e32 v71, 0x36a6, v2
	v_fmamk_f16 v72, v69, 0x36a6, v59
	v_fma_f16 v59, v69, 0x36a6, -v59
	v_add_f16_e32 v1, v1, v34
	v_add_f16_e32 v34, v63, v35
	v_fmamk_f16 v35, v29, 0xbb47, v71
	v_mul_f16_e32 v63, 0xb853, v65
	v_add_f16_e32 v57, v73, v57
	v_add_f16_e32 v33, v70, v33
	;; [unrolled: 1-line block ×4, first 2 shown]
	v_mul_f16_e32 v62, 0x3abb, v2
	v_fmamk_f16 v70, v69, 0x3abb, v63
	v_mul_f16_e32 v59, 0xba0c, v65
	v_fma_f16 v63, v69, 0x3abb, -v63
	v_mul_f16_e32 v2, 0xb93d, v2
	v_fmamk_f16 v65, v29, 0x3853, v62
	v_add_f16_e32 v57, v70, v57
	v_fmac_f16_e32 v62, 0xb853, v29
	v_fmamk_f16 v70, v69, 0xb93d, v59
	v_add_f16_e32 v37, v63, v37
	v_sub_f16_e32 v63, v3, v6
	v_add_f16_e32 v3, v3, v6
	v_fmac_f16_e32 v71, 0x3b47, v29
	v_add_f16_e32 v61, v65, v61
	v_add_f16_e32 v58, v62, v58
	;; [unrolled: 1-line block ×3, first 2 shown]
	v_fmamk_f16 v65, v29, 0x3a0c, v2
	v_fma_f16 v59, v69, 0xb93d, -v59
	v_add_f16_e32 v6, v81, v84
	v_mul_f16_e32 v67, 0xba0c, v63
	v_fmac_f16_e32 v2, 0xba0c, v29
	v_sub_f16_e32 v29, v81, v84
	v_mul_f16_e32 v69, 0xb93d, v3
	v_add_f16_e32 v65, v65, v68
	v_fmamk_f16 v68, v6, 0xb93d, v67
	v_add_f16_e32 v8, v59, v8
	v_add_f16_e32 v0, v2, v0
	v_fmamk_f16 v2, v29, 0x3a0c, v69
	v_mul_f16_e32 v59, 0x3beb, v63
	v_fma_f16 v67, v6, 0xb93d, -v67
	v_add_f16_e32 v26, v68, v26
	v_fmac_f16_e32 v69, 0xba0c, v29
	v_add_f16_e32 v2, v2, v30
	v_fmamk_f16 v30, v6, 0xb08e, v59
	v_mul_f16_e32 v68, 0xb08e, v3
	v_add_f16_e32 v7, v67, v7
	v_mul_f16_e32 v67, 0xb853, v63
	v_add_f16_e32 v60, v72, v60
	v_add_f16_e32 v31, v69, v31
	;; [unrolled: 1-line block ×3, first 2 shown]
	v_fmamk_f16 v32, v29, 0xbbeb, v68
	v_fma_f16 v59, v6, 0xb08e, -v59
	v_fmac_f16_e32 v68, 0x3beb, v29
	v_fmamk_f16 v69, v6, 0x3abb, v67
	v_mul_f16_e32 v70, 0x3abb, v3
	v_add_f16_e32 v32, v32, v33
	v_add_f16_e32 v1, v59, v1
	;; [unrolled: 1-line block ×4, first 2 shown]
	v_fmamk_f16 v59, v29, 0x3853, v70
	v_mul_f16_e32 v60, 0xb482, v63
	v_fma_f16 v67, v6, 0x3abb, -v67
	v_mul_f16_e32 v68, 0xbbad, v3
	v_mul_f16_e32 v63, 0x3b47, v63
	v_add_f16_e32 v35, v59, v35
	v_fmamk_f16 v59, v6, 0xbbad, v60
	v_add_f16_e32 v36, v67, v36
	v_fmamk_f16 v67, v29, 0x3482, v68
	v_fmac_f16_e32 v68, 0xb482, v29
	v_mul_f16_e32 v3, 0x36a6, v3
	v_add_f16_e32 v57, v59, v57
	v_fma_f16 v59, v6, 0xbbad, -v60
	v_add_f16_e32 v60, v67, v61
	v_fmamk_f16 v61, v6, 0x36a6, v63
	v_add_f16_e32 v58, v68, v58
	v_add_f16_e32 v67, v82, v83
	;; [unrolled: 1-line block ×3, first 2 shown]
	v_sub_f16_e32 v59, v4, v5
	v_add_f16_e32 v4, v4, v5
	v_fmac_f16_e32 v70, 0xb853, v29
	v_add_f16_e32 v61, v61, v62
	v_fmamk_f16 v62, v29, 0xbb47, v3
	v_mul_f16_e32 v68, 0xb482, v59
	v_fma_f16 v5, v6, 0x36a6, -v63
	v_fmac_f16_e32 v3, 0x3b47, v29
	v_sub_f16_e32 v6, v82, v83
	v_mul_f16_e32 v63, 0xbbad, v4
	v_fmamk_f16 v29, v67, 0xbbad, v68
	v_add_f16_e32 v27, v27, v79
	v_add_f16_e32 v62, v62, v65
	;; [unrolled: 1-line block ×5, first 2 shown]
	v_fmamk_f16 v8, v6, 0x3482, v63
	v_mul_f16_e32 v26, 0x3853, v59
	v_fma_f16 v29, v67, 0xbbad, -v68
	v_fmac_f16_e32 v63, 0xb482, v6
	v_mul_f16_e32 v65, 0x3abb, v4
	v_add_f16_e32 v27, v27, v80
	v_add_f16_e32 v2, v8, v2
	v_fmamk_f16 v8, v67, 0x3abb, v26
	v_add_f16_e32 v7, v29, v7
	v_add_f16_e32 v29, v63, v31
	v_fmamk_f16 v31, v6, 0xb853, v65
	v_mul_f16_e32 v63, 0xba0c, v59
	v_fma_f16 v26, v67, 0x3abb, -v26
	v_fmac_f16_e32 v65, 0x3853, v6
	v_add_f16_e32 v27, v27, v81
	v_add_f16_e32 v56, v71, v56
	;; [unrolled: 1-line block ×4, first 2 shown]
	v_fmamk_f16 v31, v67, 0xb93d, v63
	v_mul_f16_e32 v32, 0xb93d, v4
	v_add_f16_e32 v1, v26, v1
	v_add_f16_e32 v26, v65, v33
	v_mul_f16_e32 v33, 0x3b47, v59
	v_add_f16_e32 v27, v27, v82
	v_add_f16_e32 v56, v70, v56
	v_add_f16_e32 v31, v31, v34
	v_fmamk_f16 v34, v6, 0x3a0c, v32
	v_fma_f16 v63, v67, 0xb93d, -v63
	v_fmac_f16_e32 v32, 0xba0c, v6
	v_fmamk_f16 v65, v67, 0x36a6, v33
	v_mul_f16_e32 v68, 0x36a6, v4
	v_add_f16_e32 v27, v27, v83
	v_add_f16_e32 v34, v34, v35
	;; [unrolled: 1-line block ×5, first 2 shown]
	v_fmamk_f16 v56, v6, 0xbb47, v68
	v_fma_f16 v33, v67, 0x36a6, -v33
	v_mul_f16_e32 v57, 0xbbeb, v59
	v_mul_f16_e32 v4, 0xb08e, v4
	v_add_f16_e32 v27, v27, v84
	v_add_f16_e32 v56, v56, v60
	;; [unrolled: 1-line block ×3, first 2 shown]
	v_fmamk_f16 v37, v67, 0xb08e, v57
	v_fmamk_f16 v59, v6, 0x3beb, v4
	s_waitcnt vmcnt(20)
	v_lshrrev_b32_e32 v60, 16, v48
	v_add_f16_e32 v27, v27, v85
	v_fmac_f16_e32 v68, 0x3b47, v6
	v_fma_f16 v57, v67, 0xb08e, -v57
	v_add_f16_e32 v37, v37, v61
	v_add_f16_e32 v59, v59, v62
	v_lshrrev_b32_e32 v61, 16, v47
	v_mul_f16_e32 v62, v47, v60
	v_fmac_f16_e32 v4, 0xbbeb, v6
	s_waitcnt vmcnt(18)
	v_lshrrev_b32_e32 v6, 16, v49
	v_add_f16_e32 v27, v27, v86
	v_add_f16_e32 v5, v57, v5
	v_mul_f16_e32 v57, v61, v60
	v_fmac_f16_e32 v62, v61, v48
	v_lshrrev_b32_e32 v60, 16, v39
	v_add_f16_e32 v0, v4, v0
	v_mul_f16_e32 v4, v39, v6
	v_add_f16_e32 v27, v27, v87
	v_fma_f16 v47, v47, v48, -v57
	v_mul_f16_e32 v48, v9, v62
	v_mul_f16_e32 v6, v60, v6
	s_waitcnt vmcnt(16)
	v_lshrrev_b32_e32 v57, 16, v50
	v_fmac_f16_e32 v4, v60, v49
	v_lshrrev_b32_e32 v61, 16, v40
	v_mul_f16_e32 v60, v27, v62
	v_fma_f16 v6, v39, v49, -v6
	v_mul_f16_e32 v39, v40, v57
	v_mul_f16_e32 v49, v2, v4
	v_fmac_f16_e32 v48, v27, v47
	v_mul_f16_e32 v27, v61, v57
	v_fma_f16 v9, v9, v47, -v60
	v_fmac_f16_e32 v39, v61, v50
	v_fmac_f16_e32 v49, v3, v6
	v_mul_f16_e32 v3, v3, v4
	v_fma_f16 v4, v40, v50, -v27
	s_waitcnt vmcnt(14)
	v_lshrrev_b32_e32 v27, 16, v51
	v_mul_f16_e32 v40, v30, v39
	v_lshrrev_b32_e32 v47, 16, v41
	v_fma_f16 v2, v2, v6, -v3
	s_waitcnt vmcnt(12)
	v_lshrrev_b32_e32 v3, 16, v52
	v_mul_f16_e32 v6, v41, v27
	v_fmac_f16_e32 v40, v8, v4
	v_mul_f16_e32 v27, v47, v27
	v_lshrrev_b32_e32 v50, 16, v42
	v_mul_f16_e32 v57, v42, v3
	v_fmac_f16_e32 v6, v47, v51
	v_mul_f16_e32 v8, v8, v39
	v_fma_f16 v27, v41, v51, -v27
	v_mul_f16_e32 v3, v50, v3
	v_fmac_f16_e32 v57, v50, v52
	v_mul_f16_e32 v39, v34, v6
	v_fma_f16 v4, v30, v4, -v8
	v_mul_f16_e32 v6, v31, v6
	s_waitcnt vmcnt(10)
	v_lshrrev_b32_e32 v30, 16, v53
	v_fma_f16 v3, v42, v52, -v3
	v_mul_f16_e32 v8, v56, v57
	v_fmac_f16_e32 v39, v31, v27
	v_fma_f16 v6, v34, v27, -v6
	v_lshrrev_b32_e32 v27, 16, v43
	v_mul_f16_e32 v34, v43, v30
	s_waitcnt vmcnt(8)
	v_lshrrev_b32_e32 v31, 16, v54
	v_fmac_f16_e32 v8, v36, v3
	v_mul_f16_e32 v36, v36, v57
	v_mul_f16_e32 v30, v27, v30
	v_lshrrev_b32_e32 v41, 16, v44
	v_fmac_f16_e32 v34, v27, v53
	v_mul_f16_e32 v42, v44, v31
	v_fma_f16 v3, v56, v3, -v36
	v_fma_f16 v27, v43, v53, -v30
	v_mul_f16_e32 v30, v41, v31
	v_mul_f16_e32 v31, v59, v34
	s_waitcnt vmcnt(6)
	v_lshrrev_b32_e32 v36, 16, v55
	v_fmac_f16_e32 v42, v41, v54
	v_mul_f16_e32 v34, v37, v34
	v_fma_f16 v30, v44, v54, -v30
	v_fmac_f16_e32 v31, v37, v27
	v_lshrrev_b32_e32 v37, 16, v45
	v_mul_f16_e32 v43, v45, v36
	v_mul_f16_e32 v41, v0, v42
	v_add_f16_e32 v58, v68, v58
	v_fma_f16 v27, v59, v27, -v34
	v_mul_f16_e32 v36, v37, v36
	v_fmac_f16_e32 v43, v37, v55
	v_fmac_f16_e32 v41, v5, v30
	v_mul_f16_e32 v5, v5, v42
	s_waitcnt vmcnt(4)
	v_lshrrev_b32_e32 v34, 16, v46
	v_lshrrev_b32_e32 v37, 16, v38
	v_fma_f16 v36, v45, v55, -v36
	v_mul_f16_e32 v44, v58, v43
	v_fma_f16 v0, v0, v30, -v5
	v_mul_f16_e32 v5, v33, v43
	v_mul_f16_e32 v42, v38, v34
	;; [unrolled: 1-line block ×3, first 2 shown]
	v_fmac_f16_e32 v44, v33, v36
	s_waitcnt vmcnt(2)
	v_lshrrev_b32_e32 v33, 16, v28
	v_fma_f16 v5, v58, v36, -v5
	s_waitcnt vmcnt(0)
	v_lshrrev_b32_e32 v36, 16, v25
	v_fmac_f16_e32 v42, v37, v46
	v_fma_f16 v30, v38, v46, -v34
	v_lshrrev_b32_e32 v37, 16, v64
	v_mul_f16_e32 v38, v64, v33
	v_lshrrev_b32_e32 v43, 16, v66
	v_mul_f16_e32 v45, v66, v36
	v_mul_f16_e32 v34, v32, v42
	;; [unrolled: 1-line block ×3, first 2 shown]
	v_fmac_f16_e32 v38, v37, v28
	v_mul_f16_e32 v36, v43, v36
	v_fmac_f16_e32 v45, v43, v25
	v_fmac_f16_e32 v34, v35, v30
	v_fma_f16 v28, v64, v28, -v33
	v_mul_f16_e32 v33, v26, v38
	v_fma_f16 v25, v66, v25, -v36
	v_mul_f16_e32 v36, v29, v45
	v_mul_f16_e32 v35, v35, v42
	;; [unrolled: 1-line block ×3, first 2 shown]
	v_fmac_f16_e32 v33, v1, v28
	v_mul_f16_e32 v1, v7, v45
	v_fmac_f16_e32 v36, v7, v25
	v_pack_b32_f16 v7, v48, v9
	v_pack_b32_f16 v2, v49, v2
	v_fma_f16 v30, v32, v30, -v35
	v_fma_f16 v26, v26, v28, -v37
	;; [unrolled: 1-line block ×3, first 2 shown]
	s_barrier
	buffer_gl0_inv
	ds_store_2addr_b32 v24, v7, v2 offset1:11
	v_pack_b32_f16 v2, v40, v4
	v_pack_b32_f16 v4, v39, v6
	;; [unrolled: 1-line block ×9, first 2 shown]
	ds_store_2addr_b32 v24, v2, v4 offset0:22 offset1:33
	ds_store_2addr_b32 v24, v3, v6 offset0:44 offset1:55
	;; [unrolled: 1-line block ×4, first 2 shown]
	ds_store_b32 v24, v1 offset:440
	s_waitcnt lgkmcnt(0)
	s_barrier
	buffer_gl0_inv
	s_and_saveexec_b32 s8, s23
	s_cbranch_execz .LBB0_16
; %bb.15:
	v_mad_u64_u32 v[0:1], null, s6, v21, 0
	v_mad_u64_u32 v[2:3], null, s4, v19, 0
	s_mul_i32 s1, s1, s22
	s_mul_hi_u32 s6, s0, s22
	s_mul_i32 s0, s0, s22
	s_add_i32 s1, s6, s1
	v_add3_u32 v24, 0, v23, v22
	s_lshl_b64 s[0:1], s[0:1], 2
	s_delay_alu instid0(VALU_DEP_2) | instskip(SKIP_4) | instid1(VALU_DEP_3)
	v_mad_u64_u32 v[4:5], null, s7, v21, v[1:2]
	v_mad_u64_u32 v[5:6], null, s4, v20, 0
	;; [unrolled: 1-line block ×3, first 2 shown]
	s_add_u32 s2, s2, s0
	s_addc_u32 s3, s3, s1
	v_mad_u64_u32 v[7:8], null, s5, v19, v[3:4]
	s_delay_alu instid0(VALU_DEP_3)
	v_dual_mov_b32 v1, v4 :: v_dual_mov_b32 v4, v6
	s_lshl_b64 s[0:1], s[20:21], 2
	ds_load_2addr_b32 v[8:9], v24 offset1:11
	s_add_u32 s0, s2, s0
	v_lshlrev_b64 v[0:1], 2, v[0:1]
	v_mov_b32_e32 v3, v7
	s_addc_u32 s1, s3, s1
	v_mad_u64_u32 v[6:7], null, s5, v20, v[4:5]
	s_delay_alu instid0(VALU_DEP_3) | instskip(SKIP_3) | instid1(VALU_DEP_2)
	v_add_co_u32 v25, vcc_lo, s0, v0
	v_mov_b32_e32 v0, v22
	v_lshlrev_b64 v[2:3], 2, v[2:3]
	v_add_co_ci_u32_e32 v26, vcc_lo, s1, v1, vcc_lo
	v_add_co_u32 v1, vcc_lo, v25, v2
	s_delay_alu instid0(VALU_DEP_2) | instskip(NEXT) | instid1(VALU_DEP_2)
	v_add_co_ci_u32_e32 v2, vcc_lo, v26, v3, vcc_lo
	v_mad_u64_u32 v[3:4], null, s5, v18, v[0:1]
	v_mad_u64_u32 v[18:19], null, s4, v17, 0
	s_waitcnt lgkmcnt(0)
	global_store_b32 v[1:2], v8, off
	v_lshlrev_b64 v[0:1], 2, v[5:6]
	v_mad_u64_u32 v[5:6], null, s4, v16, 0
	v_mov_b32_e32 v22, v3
	ds_load_2addr_b32 v[2:3], v24 offset0:22 offset1:33
	v_mov_b32_e32 v4, v19
	v_add_co_u32 v0, vcc_lo, v25, v0
	v_lshlrev_b64 v[7:8], 2, v[21:22]
	v_add_co_ci_u32_e32 v1, vcc_lo, v26, v1, vcc_lo
	s_delay_alu instid0(VALU_DEP_4)
	v_mad_u64_u32 v[19:20], null, s5, v17, v[4:5]
	v_mov_b32_e32 v4, v6
	v_mad_u64_u32 v[20:21], null, s4, v15, 0
	v_add_co_u32 v6, vcc_lo, v25, v7
	v_add_co_ci_u32_e32 v7, vcc_lo, v26, v8, vcc_lo
	global_store_b32 v[0:1], v9, off
	v_mov_b32_e32 v0, v21
	s_waitcnt lgkmcnt(0)
	global_store_b32 v[6:7], v2, off
	v_lshlrev_b64 v[1:2], 2, v[18:19]
	s_delay_alu instid0(VALU_DEP_1) | instskip(SKIP_2) | instid1(VALU_DEP_4)
	v_mad_u64_u32 v[7:8], null, s5, v15, v[0:1]
	v_mad_u64_u32 v[8:9], null, s4, v14, 0
	v_add_co_u32 v0, vcc_lo, v25, v1
	v_add_co_ci_u32_e32 v1, vcc_lo, v26, v2, vcc_lo
	s_delay_alu instid0(VALU_DEP_4)
	v_mov_b32_e32 v21, v7
	v_mad_u64_u32 v[22:23], null, s5, v16, v[4:5]
	ds_load_2addr_b32 v[15:16], v24 offset0:44 offset1:55
	global_store_b32 v[0:1], v3, off
	v_mov_b32_e32 v2, v9
	v_lshlrev_b64 v[0:1], 2, v[20:21]
	v_mov_b32_e32 v6, v22
	s_delay_alu instid0(VALU_DEP_1) | instskip(NEXT) | instid1(VALU_DEP_1)
	v_lshlrev_b64 v[4:5], 2, v[5:6]
	v_add_co_u32 v3, vcc_lo, v25, v4
	s_delay_alu instid0(VALU_DEP_2) | instskip(SKIP_1) | instid1(VALU_DEP_3)
	v_add_co_ci_u32_e32 v4, vcc_lo, v26, v5, vcc_lo
	v_add_co_u32 v0, vcc_lo, v25, v0
	v_mad_u64_u32 v[5:6], null, s5, v14, v[2:3]
	v_add_co_ci_u32_e32 v1, vcc_lo, v26, v1, vcc_lo
	v_mad_u64_u32 v[6:7], null, s4, v13, 0
	s_waitcnt lgkmcnt(0)
	s_clause 0x1
	global_store_b32 v[3:4], v15, off
	global_store_b32 v[0:1], v16, off
	ds_load_2addr_b32 v[0:1], v24 offset0:66 offset1:77
	v_mov_b32_e32 v9, v5
	v_mad_u64_u32 v[14:15], null, s4, v12, 0
	v_mov_b32_e32 v4, v7
	s_delay_alu instid0(VALU_DEP_3) | instskip(SKIP_1) | instid1(VALU_DEP_3)
	v_lshlrev_b64 v[2:3], 2, v[8:9]
	v_mad_u64_u32 v[8:9], null, s4, v11, 0
	v_mad_u64_u32 v[16:17], null, s5, v13, v[4:5]
	v_mov_b32_e32 v5, v15
	v_mad_u64_u32 v[17:18], null, s4, v10, 0
	s_delay_alu instid0(VALU_DEP_4) | instskip(SKIP_2) | instid1(VALU_DEP_3)
	v_mov_b32_e32 v4, v9
	v_add_co_u32 v2, vcc_lo, v25, v2
	v_add_co_ci_u32_e32 v3, vcc_lo, v26, v3, vcc_lo
	v_mad_u64_u32 v[19:20], null, s5, v11, v[4:5]
	v_mad_u64_u32 v[20:21], null, s5, v12, v[5:6]
	s_waitcnt lgkmcnt(0)
	global_store_b32 v[2:3], v0, off
	v_dual_mov_b32 v0, v18 :: v_dual_mov_b32 v7, v16
	v_mov_b32_e32 v9, v19
	s_delay_alu instid0(VALU_DEP_2) | instskip(NEXT) | instid1(VALU_DEP_3)
	v_mad_u64_u32 v[4:5], null, s5, v10, v[0:1]
	v_lshlrev_b64 v[2:3], 2, v[6:7]
	s_delay_alu instid0(VALU_DEP_3)
	v_lshlrev_b64 v[5:6], 2, v[8:9]
	ds_load_2addr_b32 v[7:8], v24 offset0:88 offset1:99
	v_mov_b32_e32 v15, v20
	ds_load_b32 v0, v24 offset:440
	v_mov_b32_e32 v18, v4
	v_add_co_u32 v2, vcc_lo, v25, v2
	v_lshlrev_b64 v[9:10], 2, v[14:15]
	v_add_co_ci_u32_e32 v3, vcc_lo, v26, v3, vcc_lo
	v_add_co_u32 v4, vcc_lo, v25, v5
	v_lshlrev_b64 v[11:12], 2, v[17:18]
	v_add_co_ci_u32_e32 v5, vcc_lo, v26, v6, vcc_lo
	v_add_co_u32 v9, vcc_lo, v25, v9
	v_add_co_ci_u32_e32 v10, vcc_lo, v26, v10, vcc_lo
	s_delay_alu instid0(VALU_DEP_4)
	v_add_co_u32 v11, vcc_lo, v25, v11
	v_add_co_ci_u32_e32 v12, vcc_lo, v26, v12, vcc_lo
	global_store_b32 v[2:3], v1, off
	s_waitcnt lgkmcnt(1)
	s_clause 0x1
	global_store_b32 v[4:5], v7, off
	global_store_b32 v[9:10], v8, off
	s_waitcnt lgkmcnt(0)
	global_store_b32 v[11:12], v0, off
.LBB0_16:
	s_nop 0
	s_sendmsg sendmsg(MSG_DEALLOC_VGPRS)
	s_endpgm
	.section	.rodata,"a",@progbits
	.p2align	6, 0x0
	.amdhsa_kernel fft_rtc_back_len121_factors_11_11_wgs_121_tpt_11_half_op_CI_CI_sbcc_twdbase8_2step
		.amdhsa_group_segment_fixed_size 0
		.amdhsa_private_segment_fixed_size 0
		.amdhsa_kernarg_size 112
		.amdhsa_user_sgpr_count 15
		.amdhsa_user_sgpr_dispatch_ptr 0
		.amdhsa_user_sgpr_queue_ptr 0
		.amdhsa_user_sgpr_kernarg_segment_ptr 1
		.amdhsa_user_sgpr_dispatch_id 0
		.amdhsa_user_sgpr_private_segment_size 0
		.amdhsa_wavefront_size32 1
		.amdhsa_uses_dynamic_stack 0
		.amdhsa_enable_private_segment 0
		.amdhsa_system_sgpr_workgroup_id_x 1
		.amdhsa_system_sgpr_workgroup_id_y 0
		.amdhsa_system_sgpr_workgroup_id_z 0
		.amdhsa_system_sgpr_workgroup_info 0
		.amdhsa_system_vgpr_workitem_id 0
		.amdhsa_next_free_vgpr 88
		.amdhsa_next_free_sgpr 59
		.amdhsa_reserve_vcc 1
		.amdhsa_float_round_mode_32 0
		.amdhsa_float_round_mode_16_64 0
		.amdhsa_float_denorm_mode_32 3
		.amdhsa_float_denorm_mode_16_64 3
		.amdhsa_dx10_clamp 1
		.amdhsa_ieee_mode 1
		.amdhsa_fp16_overflow 0
		.amdhsa_workgroup_processor_mode 1
		.amdhsa_memory_ordered 1
		.amdhsa_forward_progress 0
		.amdhsa_shared_vgpr_count 0
		.amdhsa_exception_fp_ieee_invalid_op 0
		.amdhsa_exception_fp_denorm_src 0
		.amdhsa_exception_fp_ieee_div_zero 0
		.amdhsa_exception_fp_ieee_overflow 0
		.amdhsa_exception_fp_ieee_underflow 0
		.amdhsa_exception_fp_ieee_inexact 0
		.amdhsa_exception_int_div_zero 0
	.end_amdhsa_kernel
	.text
.Lfunc_end0:
	.size	fft_rtc_back_len121_factors_11_11_wgs_121_tpt_11_half_op_CI_CI_sbcc_twdbase8_2step, .Lfunc_end0-fft_rtc_back_len121_factors_11_11_wgs_121_tpt_11_half_op_CI_CI_sbcc_twdbase8_2step
                                        ; -- End function
	.section	.AMDGPU.csdata,"",@progbits
; Kernel info:
; codeLenInByte = 9672
; NumSgprs: 61
; NumVgprs: 88
; ScratchSize: 0
; MemoryBound: 0
; FloatMode: 240
; IeeeMode: 1
; LDSByteSize: 0 bytes/workgroup (compile time only)
; SGPRBlocks: 7
; VGPRBlocks: 10
; NumSGPRsForWavesPerEU: 61
; NumVGPRsForWavesPerEU: 88
; Occupancy: 16
; WaveLimiterHint : 1
; COMPUTE_PGM_RSRC2:SCRATCH_EN: 0
; COMPUTE_PGM_RSRC2:USER_SGPR: 15
; COMPUTE_PGM_RSRC2:TRAP_HANDLER: 0
; COMPUTE_PGM_RSRC2:TGID_X_EN: 1
; COMPUTE_PGM_RSRC2:TGID_Y_EN: 0
; COMPUTE_PGM_RSRC2:TGID_Z_EN: 0
; COMPUTE_PGM_RSRC2:TIDIG_COMP_CNT: 0
	.text
	.p2alignl 7, 3214868480
	.fill 96, 4, 3214868480
	.type	__hip_cuid_c75b5858977d4329,@object ; @__hip_cuid_c75b5858977d4329
	.section	.bss,"aw",@nobits
	.globl	__hip_cuid_c75b5858977d4329
__hip_cuid_c75b5858977d4329:
	.byte	0                               ; 0x0
	.size	__hip_cuid_c75b5858977d4329, 1

	.ident	"AMD clang version 19.0.0git (https://github.com/RadeonOpenCompute/llvm-project roc-6.4.0 25133 c7fe45cf4b819c5991fe208aaa96edf142730f1d)"
	.section	".note.GNU-stack","",@progbits
	.addrsig
	.addrsig_sym __hip_cuid_c75b5858977d4329
	.amdgpu_metadata
---
amdhsa.kernels:
  - .args:
      - .actual_access:  read_only
        .address_space:  global
        .offset:         0
        .size:           8
        .value_kind:     global_buffer
      - .address_space:  global
        .offset:         8
        .size:           8
        .value_kind:     global_buffer
      - .offset:         16
        .size:           8
        .value_kind:     by_value
      - .actual_access:  read_only
        .address_space:  global
        .offset:         24
        .size:           8
        .value_kind:     global_buffer
      - .actual_access:  read_only
        .address_space:  global
        .offset:         32
        .size:           8
        .value_kind:     global_buffer
      - .actual_access:  read_only
        .address_space:  global
        .offset:         40
        .size:           8
        .value_kind:     global_buffer
      - .offset:         48
        .size:           8
        .value_kind:     by_value
      - .actual_access:  read_only
        .address_space:  global
        .offset:         56
        .size:           8
        .value_kind:     global_buffer
      - .actual_access:  read_only
        .address_space:  global
        .offset:         64
        .size:           8
        .value_kind:     global_buffer
      - .offset:         72
        .size:           4
        .value_kind:     by_value
      - .actual_access:  read_only
        .address_space:  global
        .offset:         80
        .size:           8
        .value_kind:     global_buffer
      - .actual_access:  read_only
        .address_space:  global
        .offset:         88
        .size:           8
        .value_kind:     global_buffer
      - .actual_access:  read_only
        .address_space:  global
        .offset:         96
        .size:           8
        .value_kind:     global_buffer
      - .actual_access:  write_only
        .address_space:  global
        .offset:         104
        .size:           8
        .value_kind:     global_buffer
    .group_segment_fixed_size: 0
    .kernarg_segment_align: 8
    .kernarg_segment_size: 112
    .language:       OpenCL C
    .language_version:
      - 2
      - 0
    .max_flat_workgroup_size: 121
    .name:           fft_rtc_back_len121_factors_11_11_wgs_121_tpt_11_half_op_CI_CI_sbcc_twdbase8_2step
    .private_segment_fixed_size: 0
    .sgpr_count:     61
    .sgpr_spill_count: 0
    .symbol:         fft_rtc_back_len121_factors_11_11_wgs_121_tpt_11_half_op_CI_CI_sbcc_twdbase8_2step.kd
    .uniform_work_group_size: 1
    .uses_dynamic_stack: false
    .vgpr_count:     88
    .vgpr_spill_count: 0
    .wavefront_size: 32
    .workgroup_processor_mode: 1
amdhsa.target:   amdgcn-amd-amdhsa--gfx1100
amdhsa.version:
  - 1
  - 2
...

	.end_amdgpu_metadata
